;; amdgpu-corpus repo=ROCm/rocFFT kind=compiled arch=gfx1030 opt=O3
	.text
	.amdgcn_target "amdgcn-amd-amdhsa--gfx1030"
	.amdhsa_code_object_version 6
	.protected	fft_rtc_back_len312_factors_13_4_3_2_wgs_52_tpt_26_sp_ip_CI_unitstride_sbrr_dirReg ; -- Begin function fft_rtc_back_len312_factors_13_4_3_2_wgs_52_tpt_26_sp_ip_CI_unitstride_sbrr_dirReg
	.globl	fft_rtc_back_len312_factors_13_4_3_2_wgs_52_tpt_26_sp_ip_CI_unitstride_sbrr_dirReg
	.p2align	8
	.type	fft_rtc_back_len312_factors_13_4_3_2_wgs_52_tpt_26_sp_ip_CI_unitstride_sbrr_dirReg,@function
fft_rtc_back_len312_factors_13_4_3_2_wgs_52_tpt_26_sp_ip_CI_unitstride_sbrr_dirReg: ; @fft_rtc_back_len312_factors_13_4_3_2_wgs_52_tpt_26_sp_ip_CI_unitstride_sbrr_dirReg
; %bb.0:
	s_clause 0x2
	s_load_dwordx4 s[8:11], s[4:5], 0x0
	s_load_dwordx2 s[2:3], s[4:5], 0x50
	s_load_dwordx2 s[12:13], s[4:5], 0x18
	v_mul_u32_u24_e32 v1, 0x9d9, v0
	v_mov_b32_e32 v3, 0
	v_lshrrev_b32_e32 v29, 16, v1
	v_mov_b32_e32 v1, 0
	v_mov_b32_e32 v6, v3
	v_mov_b32_e32 v2, 0
	v_lshl_add_u32 v5, s6, 1, v29
	s_waitcnt lgkmcnt(0)
	v_cmp_lt_u64_e64 s0, s[10:11], 2
	s_and_b32 vcc_lo, exec_lo, s0
	s_cbranch_vccnz .LBB0_8
; %bb.1:
	s_load_dwordx2 s[0:1], s[4:5], 0x10
	v_mov_b32_e32 v1, 0
	s_add_u32 s6, s12, 8
	v_mov_b32_e32 v2, 0
	s_addc_u32 s7, s13, 0
	s_mov_b64 s[16:17], 1
	s_waitcnt lgkmcnt(0)
	s_add_u32 s14, s0, 8
	s_addc_u32 s15, s1, 0
.LBB0_2:                                ; =>This Inner Loop Header: Depth=1
	s_load_dwordx2 s[18:19], s[14:15], 0x0
                                        ; implicit-def: $vgpr7_vgpr8
	s_mov_b32 s0, exec_lo
	s_waitcnt lgkmcnt(0)
	v_or_b32_e32 v4, s19, v6
	v_cmpx_ne_u64_e32 0, v[3:4]
	s_xor_b32 s1, exec_lo, s0
	s_cbranch_execz .LBB0_4
; %bb.3:                                ;   in Loop: Header=BB0_2 Depth=1
	v_cvt_f32_u32_e32 v4, s18
	v_cvt_f32_u32_e32 v7, s19
	s_sub_u32 s0, 0, s18
	s_subb_u32 s20, 0, s19
	v_fmac_f32_e32 v4, 0x4f800000, v7
	v_rcp_f32_e32 v4, v4
	v_mul_f32_e32 v4, 0x5f7ffffc, v4
	v_mul_f32_e32 v7, 0x2f800000, v4
	v_trunc_f32_e32 v7, v7
	v_fmac_f32_e32 v4, 0xcf800000, v7
	v_cvt_u32_f32_e32 v7, v7
	v_cvt_u32_f32_e32 v4, v4
	v_mul_lo_u32 v8, s0, v7
	v_mul_hi_u32 v9, s0, v4
	v_mul_lo_u32 v10, s20, v4
	v_add_nc_u32_e32 v8, v9, v8
	v_mul_lo_u32 v9, s0, v4
	v_add_nc_u32_e32 v8, v8, v10
	v_mul_hi_u32 v10, v4, v9
	v_mul_lo_u32 v11, v4, v8
	v_mul_hi_u32 v12, v4, v8
	v_mul_hi_u32 v13, v7, v9
	v_mul_lo_u32 v9, v7, v9
	v_mul_hi_u32 v14, v7, v8
	v_mul_lo_u32 v8, v7, v8
	v_add_co_u32 v10, vcc_lo, v10, v11
	v_add_co_ci_u32_e32 v11, vcc_lo, 0, v12, vcc_lo
	v_add_co_u32 v9, vcc_lo, v10, v9
	v_add_co_ci_u32_e32 v9, vcc_lo, v11, v13, vcc_lo
	v_add_co_ci_u32_e32 v10, vcc_lo, 0, v14, vcc_lo
	v_add_co_u32 v8, vcc_lo, v9, v8
	v_add_co_ci_u32_e32 v9, vcc_lo, 0, v10, vcc_lo
	v_add_co_u32 v4, vcc_lo, v4, v8
	v_add_co_ci_u32_e32 v7, vcc_lo, v7, v9, vcc_lo
	v_mul_hi_u32 v8, s0, v4
	v_mul_lo_u32 v10, s20, v4
	v_mul_lo_u32 v9, s0, v7
	v_add_nc_u32_e32 v8, v8, v9
	v_mul_lo_u32 v9, s0, v4
	v_add_nc_u32_e32 v8, v8, v10
	v_mul_hi_u32 v10, v4, v9
	v_mul_lo_u32 v11, v4, v8
	v_mul_hi_u32 v12, v4, v8
	v_mul_hi_u32 v13, v7, v9
	v_mul_lo_u32 v9, v7, v9
	v_mul_hi_u32 v14, v7, v8
	v_mul_lo_u32 v8, v7, v8
	v_add_co_u32 v10, vcc_lo, v10, v11
	v_add_co_ci_u32_e32 v11, vcc_lo, 0, v12, vcc_lo
	v_add_co_u32 v9, vcc_lo, v10, v9
	v_add_co_ci_u32_e32 v9, vcc_lo, v11, v13, vcc_lo
	v_add_co_ci_u32_e32 v10, vcc_lo, 0, v14, vcc_lo
	v_add_co_u32 v8, vcc_lo, v9, v8
	v_add_co_ci_u32_e32 v9, vcc_lo, 0, v10, vcc_lo
	v_add_co_u32 v4, vcc_lo, v4, v8
	v_add_co_ci_u32_e32 v11, vcc_lo, v7, v9, vcc_lo
	v_mul_hi_u32 v13, v5, v4
	v_mad_u64_u32 v[9:10], null, v6, v4, 0
	v_mad_u64_u32 v[7:8], null, v5, v11, 0
	;; [unrolled: 1-line block ×3, first 2 shown]
	v_add_co_u32 v4, vcc_lo, v13, v7
	v_add_co_ci_u32_e32 v7, vcc_lo, 0, v8, vcc_lo
	v_add_co_u32 v4, vcc_lo, v4, v9
	v_add_co_ci_u32_e32 v4, vcc_lo, v7, v10, vcc_lo
	v_add_co_ci_u32_e32 v7, vcc_lo, 0, v12, vcc_lo
	v_add_co_u32 v4, vcc_lo, v4, v11
	v_add_co_ci_u32_e32 v9, vcc_lo, 0, v7, vcc_lo
	v_mul_lo_u32 v10, s19, v4
	v_mad_u64_u32 v[7:8], null, s18, v4, 0
	v_mul_lo_u32 v11, s18, v9
	v_sub_co_u32 v7, vcc_lo, v5, v7
	v_add3_u32 v8, v8, v11, v10
	v_sub_nc_u32_e32 v10, v6, v8
	v_subrev_co_ci_u32_e64 v10, s0, s19, v10, vcc_lo
	v_add_co_u32 v11, s0, v4, 2
	v_add_co_ci_u32_e64 v12, s0, 0, v9, s0
	v_sub_co_u32 v13, s0, v7, s18
	v_sub_co_ci_u32_e32 v8, vcc_lo, v6, v8, vcc_lo
	v_subrev_co_ci_u32_e64 v10, s0, 0, v10, s0
	v_cmp_le_u32_e32 vcc_lo, s18, v13
	v_cmp_eq_u32_e64 s0, s19, v8
	v_cndmask_b32_e64 v13, 0, -1, vcc_lo
	v_cmp_le_u32_e32 vcc_lo, s19, v10
	v_cndmask_b32_e64 v14, 0, -1, vcc_lo
	v_cmp_le_u32_e32 vcc_lo, s18, v7
	;; [unrolled: 2-line block ×3, first 2 shown]
	v_cndmask_b32_e64 v15, 0, -1, vcc_lo
	v_cmp_eq_u32_e32 vcc_lo, s19, v10
	v_cndmask_b32_e64 v7, v15, v7, s0
	v_cndmask_b32_e32 v10, v14, v13, vcc_lo
	v_add_co_u32 v13, vcc_lo, v4, 1
	v_add_co_ci_u32_e32 v14, vcc_lo, 0, v9, vcc_lo
	v_cmp_ne_u32_e32 vcc_lo, 0, v10
	v_cndmask_b32_e32 v8, v14, v12, vcc_lo
	v_cndmask_b32_e32 v10, v13, v11, vcc_lo
	v_cmp_ne_u32_e32 vcc_lo, 0, v7
	v_cndmask_b32_e32 v8, v9, v8, vcc_lo
	v_cndmask_b32_e32 v7, v4, v10, vcc_lo
.LBB0_4:                                ;   in Loop: Header=BB0_2 Depth=1
	s_andn2_saveexec_b32 s0, s1
	s_cbranch_execz .LBB0_6
; %bb.5:                                ;   in Loop: Header=BB0_2 Depth=1
	v_cvt_f32_u32_e32 v4, s18
	s_sub_i32 s1, 0, s18
	v_rcp_iflag_f32_e32 v4, v4
	v_mul_f32_e32 v4, 0x4f7ffffe, v4
	v_cvt_u32_f32_e32 v4, v4
	v_mul_lo_u32 v7, s1, v4
	v_mul_hi_u32 v7, v4, v7
	v_add_nc_u32_e32 v4, v4, v7
	v_mul_hi_u32 v4, v5, v4
	v_mul_lo_u32 v7, v4, s18
	v_add_nc_u32_e32 v8, 1, v4
	v_sub_nc_u32_e32 v7, v5, v7
	v_subrev_nc_u32_e32 v9, s18, v7
	v_cmp_le_u32_e32 vcc_lo, s18, v7
	v_cndmask_b32_e32 v7, v7, v9, vcc_lo
	v_cndmask_b32_e32 v4, v4, v8, vcc_lo
	v_cmp_le_u32_e32 vcc_lo, s18, v7
	v_add_nc_u32_e32 v8, 1, v4
	v_cndmask_b32_e32 v7, v4, v8, vcc_lo
	v_mov_b32_e32 v8, v3
.LBB0_6:                                ;   in Loop: Header=BB0_2 Depth=1
	s_or_b32 exec_lo, exec_lo, s0
	s_load_dwordx2 s[0:1], s[6:7], 0x0
	v_mul_lo_u32 v4, v8, s18
	v_mul_lo_u32 v11, v7, s19
	v_mad_u64_u32 v[9:10], null, v7, s18, 0
	s_add_u32 s16, s16, 1
	s_addc_u32 s17, s17, 0
	s_add_u32 s6, s6, 8
	s_addc_u32 s7, s7, 0
	;; [unrolled: 2-line block ×3, first 2 shown]
	v_add3_u32 v4, v10, v11, v4
	v_sub_co_u32 v5, vcc_lo, v5, v9
	v_sub_co_ci_u32_e32 v4, vcc_lo, v6, v4, vcc_lo
	s_waitcnt lgkmcnt(0)
	v_mul_lo_u32 v6, s1, v5
	v_mul_lo_u32 v4, s0, v4
	v_mad_u64_u32 v[1:2], null, s0, v5, v[1:2]
	v_cmp_ge_u64_e64 s0, s[16:17], s[10:11]
	s_and_b32 vcc_lo, exec_lo, s0
	v_add3_u32 v2, v6, v2, v4
	s_cbranch_vccnz .LBB0_9
; %bb.7:                                ;   in Loop: Header=BB0_2 Depth=1
	v_mov_b32_e32 v5, v7
	v_mov_b32_e32 v6, v8
	s_branch .LBB0_2
.LBB0_8:
	v_mov_b32_e32 v8, v6
	v_mov_b32_e32 v7, v5
.LBB0_9:
	s_lshl_b64 s[0:1], s[10:11], 3
	v_mul_hi_u32 v3, 0x9d89d8a, v0
	s_add_u32 s0, s12, s0
	s_addc_u32 s1, s13, s1
                                        ; implicit-def: $vgpr28
                                        ; implicit-def: $vgpr26
                                        ; implicit-def: $vgpr24
                                        ; implicit-def: $vgpr22
                                        ; implicit-def: $vgpr18
                                        ; implicit-def: $vgpr16
                                        ; implicit-def: $vgpr14
                                        ; implicit-def: $vgpr12
                                        ; implicit-def: $vgpr10
                                        ; implicit-def: $vgpr20
	s_load_dwordx2 s[0:1], s[0:1], 0x0
	s_load_dwordx2 s[4:5], s[4:5], 0x20
	s_waitcnt lgkmcnt(0)
	v_mul_lo_u32 v4, s0, v8
	v_mul_lo_u32 v9, s1, v7
	v_mad_u64_u32 v[5:6], null, s0, v7, v[1:2]
	v_mul_u32_u24_e32 v1, 26, v3
	v_cmp_gt_u64_e32 vcc_lo, s[4:5], v[7:8]
	v_mov_b32_e32 v3, 0
                                        ; implicit-def: $vgpr8
	v_sub_nc_u32_e32 v2, v0, v1
	v_add3_u32 v6, v9, v6, v4
	v_mov_b32_e32 v4, 0
	v_cmp_gt_u32_e64 s0, 24, v2
	v_lshlrev_b64 v[0:1], 3, v[5:6]
                                        ; implicit-def: $vgpr6
	s_and_b32 s1, vcc_lo, s0
	s_and_saveexec_b32 s4, s1
	s_cbranch_execz .LBB0_11
; %bb.10:
	v_mov_b32_e32 v3, 0
	v_add_co_u32 v11, s1, s2, v0
	v_add_co_ci_u32_e64 v12, s1, s3, v1, s1
	v_lshlrev_b64 v[4:5], 3, v[2:3]
	v_or_b32_e32 v9, 0x120, v2
	v_mov_b32_e32 v10, v3
	v_add_co_u32 v7, s1, v11, v4
	v_add_co_ci_u32_e64 v8, s1, v12, v5, s1
	v_lshlrev_b64 v[9:10], 3, v[9:10]
	v_add_co_u32 v30, s1, 0x800, v7
	v_add_co_ci_u32_e64 v31, s1, 0, v8, s1
	s_clause 0x7
	global_load_dwordx2 v[3:4], v[7:8], off
	global_load_dwordx2 v[27:28], v[7:8], off offset:192
	global_load_dwordx2 v[25:26], v[7:8], off offset:384
	;; [unrolled: 1-line block ×7, first 2 shown]
	v_add_co_u32 v32, s1, v11, v9
	v_add_co_ci_u32_e64 v33, s1, v12, v10, s1
	s_clause 0x4
	global_load_dwordx2 v[15:16], v[7:8], off offset:1536
	global_load_dwordx2 v[13:14], v[7:8], off offset:1728
	;; [unrolled: 1-line block ×4, first 2 shown]
	global_load_dwordx2 v[7:8], v[32:33], off
.LBB0_11:
	s_or_b32 exec_lo, exec_lo, s4
	v_and_b32_e32 v29, 1, v29
	v_cmp_eq_u32_e64 s1, 1, v29
	v_cndmask_b32_e64 v29, 0, 0x138, s1
	v_lshlrev_b32_e32 v29, 3, v29
	s_and_saveexec_b32 s1, s0
	s_cbranch_execz .LBB0_13
; %bb.12:
	s_waitcnt vmcnt(0)
	v_sub_f32_e32 v43, v27, v7
	v_add_f32_e32 v34, v28, v8
	v_sub_f32_e32 v42, v25, v9
	v_add_f32_e32 v31, v26, v10
	v_sub_f32_e32 v41, v23, v11
	v_mul_f32_e32 v51, 0xbf7e222b, v43
	v_add_f32_e32 v32, v24, v12
	v_mul_f32_e32 v48, 0xbe750f2a, v42
	v_sub_f32_e32 v39, v21, v13
	v_mul_f32_e32 v49, 0x3f6f5d39, v41
	v_fmamk_f32 v35, v34, 0x3df6dbef, v51
	v_add_f32_e32 v30, v22, v14
	v_fmamk_f32 v36, v31, 0xbf788fa5, v48
	v_sub_f32_e32 v45, v28, v8
	v_mul_f32_e32 v52, 0x3eedf032, v39
	v_add_f32_e32 v37, v4, v35
	v_add_f32_e32 v35, v27, v7
	v_fmamk_f32 v38, v32, 0xbeb58ec6, v49
	v_sub_f32_e32 v46, v26, v10
	v_fmamk_f32 v44, v30, 0x3f62ad3f, v52
	v_add_f32_e32 v37, v37, v36
	v_add_f32_e32 v36, v25, v9
	v_mul_f32_e32 v54, 0x3df6dbef, v35
	v_add_f32_e32 v28, v4, v28
	v_add_f32_e32 v27, v3, v27
	;; [unrolled: 1-line block ×4, first 2 shown]
	v_fmamk_f32 v47, v45, 0x3f7e222b, v54
	v_mul_f32_e32 v55, 0xbf788fa5, v36
	v_add_f32_e32 v26, v28, v26
	v_add_f32_e32 v56, v44, v38
	v_mul_f32_e32 v53, 0xbeb58ec6, v37
	v_add_f32_e32 v58, v3, v47
	v_fmamk_f32 v59, v46, 0x3e750f2a, v55
	v_sub_f32_e32 v47, v24, v12
	v_add_f32_e32 v38, v21, v13
	v_add_f32_e32 v27, v27, v25
	v_sub_f32_e32 v40, v5, v15
	v_add_f32_e32 v58, v58, v59
	v_fmamk_f32 v59, v47, 0xbf6f5d39, v53
	v_mul_f32_e32 v60, 0x3f62ad3f, v38
	v_sub_f32_e32 v28, v22, v14
	v_add_f32_e32 v25, v5, v15
	v_add_f32_e32 v24, v26, v24
	v_add_f32_e32 v26, v27, v23
	v_add_f32_e32 v33, v6, v16
	v_mul_f32_e32 v50, 0xbf52af12, v40
	v_sub_f32_e32 v44, v17, v19
	v_add_f32_e32 v58, v59, v58
	v_fmamk_f32 v23, v28, 0xbeedf032, v60
	v_mul_f32_e32 v27, 0x3f116cb1, v25
	v_sub_f32_e32 v59, v6, v16
	v_add_f32_e32 v24, v24, v22
	v_add_f32_e32 v21, v26, v21
	v_fmamk_f32 v57, v33, 0x3f116cb1, v50
	v_mul_f32_e32 v61, 0xbf29c268, v44
	v_add_f32_e32 v22, v18, v20
	v_add_f32_e32 v58, v23, v58
	v_fmamk_f32 v62, v59, 0x3f52af12, v27
	v_add_f32_e32 v23, v17, v19
	v_add_f32_e32 v24, v24, v6
	;; [unrolled: 1-line block ×4, first 2 shown]
	v_fmamk_f32 v56, v22, 0xbf3f9e67, v61
	v_add_f32_e32 v57, v62, v58
	v_mul_f32_e32 v58, 0xbf3f9e67, v23
	v_sub_f32_e32 v62, v18, v20
	v_mul_f32_e32 v21, 0xbf6f5d39, v43
	v_add_f32_e32 v18, v24, v18
	v_add_f32_e32 v17, v5, v17
	;; [unrolled: 1-line block ×3, first 2 shown]
	v_fmamk_f32 v26, v62, 0x3f29c268, v58
	v_fmamk_f32 v24, v34, 0xbeb58ec6, v21
	v_mul_f32_e32 v56, 0x3f29c268, v42
	v_add_f32_e32 v18, v18, v20
	v_add_f32_e32 v17, v17, v19
	v_add_f32_e32 v5, v26, v57
	v_add_f32_e32 v19, v4, v24
	v_fmamk_f32 v20, v31, 0xbf3f9e67, v56
	v_mul_f32_e32 v26, 0xbeb58ec6, v35
	v_add_f32_e32 v16, v16, v18
	v_add_f32_e32 v15, v15, v17
	v_mul_f32_e32 v24, 0x3eedf032, v41
	v_add_f32_e32 v17, v19, v20
	v_fmamk_f32 v19, v45, 0x3f6f5d39, v26
	v_add_f32_e32 v14, v14, v16
	v_mul_f32_e32 v16, 0xbf3f9e67, v36
	v_add_f32_e32 v13, v13, v15
	v_fmamk_f32 v18, v32, 0x3f62ad3f, v24
	v_add_f32_e32 v19, v3, v19
	v_add_f32_e32 v12, v12, v14
	v_fmamk_f32 v14, v46, 0xbf29c268, v16
	v_mul_f32_e32 v20, 0x3f62ad3f, v37
	v_add_f32_e32 v11, v11, v13
	v_mul_f32_e32 v15, 0xbf7e222b, v39
	v_add_f32_e32 v13, v18, v17
	v_add_f32_e32 v14, v19, v14
	v_fmamk_f32 v18, v47, 0xbeedf032, v20
	v_add_f32_e32 v9, v9, v11
	v_mul_f32_e32 v19, 0x3df6dbef, v38
	v_fmamk_f32 v17, v30, 0x3df6dbef, v15
	v_add_f32_e32 v10, v10, v12
	v_add_f32_e32 v11, v18, v14
	v_mul_f32_e32 v14, 0xbf29c268, v43
	v_add_f32_e32 v7, v7, v9
	v_fmamk_f32 v9, v28, 0x3f7e222b, v19
	v_mul_f32_e32 v18, 0xbf788fa5, v25
	v_mul_f32_e32 v66, 0xbf3f9e67, v35
	;; [unrolled: 1-line block ×3, first 2 shown]
	v_add_f32_e32 v8, v8, v10
	v_add_f32_e32 v10, v17, v13
	v_fmamk_f32 v12, v34, 0xbf3f9e67, v14
	v_mul_f32_e32 v13, 0x3f7e222b, v42
	v_add_f32_e32 v9, v9, v11
	v_fmamk_f32 v65, v59, 0xbe750f2a, v18
	v_fmamk_f32 v67, v45, 0x3f29c268, v66
	v_mul_f32_e32 v68, 0x3df6dbef, v36
	v_fmamk_f32 v17, v33, 0xbf788fa5, v57
	v_mul_f32_e32 v63, 0x3f52af12, v44
	v_add_f32_e32 v11, v4, v12
	v_fmamk_f32 v12, v31, 0x3df6dbef, v13
	v_mul_f32_e32 v64, 0xbf52af12, v41
	v_add_f32_e32 v9, v65, v9
	v_add_f32_e32 v65, v3, v67
	v_fmamk_f32 v67, v46, 0xbf7e222b, v68
	v_mul_f32_e32 v71, 0x3f116cb1, v37
	v_add_f32_e32 v10, v17, v10
	v_mul_f32_e32 v17, 0x3f116cb1, v23
	v_add_f32_e32 v11, v11, v12
	v_fmamk_f32 v12, v32, 0x3f116cb1, v64
	v_mul_f32_e32 v69, 0x3e750f2a, v39
	v_fmamk_f32 v70, v22, 0x3f116cb1, v63
	v_add_f32_e32 v65, v65, v67
	v_fmamk_f32 v67, v47, 0x3f52af12, v71
	v_mul_f32_e32 v73, 0xbf788fa5, v38
	v_fmamk_f32 v72, v62, 0xbf52af12, v17
	v_add_f32_e32 v11, v12, v11
	v_fmamk_f32 v12, v30, 0xbf788fa5, v69
	v_mul_f32_e32 v74, 0x3eedf032, v40
	v_add_f32_e32 v10, v70, v10
	v_add_f32_e32 v65, v67, v65
	v_fmamk_f32 v67, v28, 0xbe750f2a, v73
	v_mul_f32_e32 v70, 0x3f62ad3f, v25
	v_add_f32_e32 v9, v72, v9
	;; [unrolled: 4-line block ×3, first 2 shown]
	v_fmamk_f32 v67, v59, 0xbeedf032, v70
	v_mul_f32_e32 v75, 0xbeb58ec6, v23
	v_mul_f32_e32 v76, 0xbe750f2a, v43
	v_add_f32_e32 v11, v12, v11
	v_fmamk_f32 v12, v22, 0xbeb58ec6, v72
	v_add_f32_e32 v65, v67, v65
	v_fmamk_f32 v67, v62, 0x3f6f5d39, v75
	v_mul_f32_e32 v77, 0xbe750f2a, v45
	v_fma_f32 v78, 0xbf788fa5, v34, -v76
	v_mul_f32_e32 v79, 0x3eedf032, v42
	v_add_f32_e32 v12, v12, v11
	v_add_f32_e32 v11, v67, v65
	v_fmamk_f32 v65, v35, 0xbf788fa5, v77
	v_mul_f32_e32 v67, 0x3eedf032, v46
	v_add_f32_e32 v78, v4, v78
	v_fma_f32 v80, 0x3f62ad3f, v31, -v79
	v_mul_f32_e32 v81, 0xbf29c268, v41
	v_fma_f32 v21, 0xbeb58ec6, v34, -v21
	v_add_f32_e32 v65, v3, v65
	v_fmamk_f32 v82, v36, 0x3f62ad3f, v67
	v_mul_f32_e32 v83, 0xbf29c268, v47
	v_add_f32_e32 v78, v78, v80
	v_fma_f32 v80, 0xbf3f9e67, v32, -v81
	v_mul_f32_e32 v84, 0x3f52af12, v39
	v_fmac_f32_e32 v26, 0xbf6f5d39, v45
	v_add_f32_e32 v21, v4, v21
	v_fma_f32 v56, 0xbf3f9e67, v31, -v56
	v_add_f32_e32 v65, v65, v82
	v_fmamk_f32 v82, v37, 0xbf3f9e67, v83
	v_mul_f32_e32 v85, 0x3f52af12, v28
	v_add_f32_e32 v78, v80, v78
	v_fma_f32 v80, 0x3f116cb1, v30, -v84
	v_mul_f32_e32 v86, 0xbf6f5d39, v40
	v_add_f32_e32 v26, v3, v26
	v_fmac_f32_e32 v16, 0x3f29c268, v46
	v_add_f32_e32 v21, v21, v56
	v_fma_f32 v24, 0x3f62ad3f, v32, -v24
	v_add_f32_e32 v65, v82, v65
	v_fmamk_f32 v82, v38, 0x3f116cb1, v85
	v_mul_f32_e32 v87, 0xbf6f5d39, v59
	v_fma_f32 v14, 0xbf3f9e67, v34, -v14
	v_add_f32_e32 v78, v80, v78
	v_fma_f32 v80, 0xbeb58ec6, v33, -v86
	v_add_f32_e32 v26, v26, v16
	v_fmac_f32_e32 v20, 0x3eedf032, v47
	v_add_f32_e32 v21, v24, v21
	v_fma_f32 v15, 0x3df6dbef, v30, -v15
	v_add_f32_e32 v65, v82, v65
	v_fmamk_f32 v82, v25, 0xbeb58ec6, v87
	v_add_f32_e32 v14, v4, v14
	v_fma_f32 v13, 0x3df6dbef, v31, -v13
	v_add_f32_e32 v78, v80, v78
	v_mul_f32_e32 v80, 0x3f7e222b, v44
	v_fmac_f32_e32 v66, 0xbf29c268, v45
	v_add_f32_e32 v20, v20, v26
	v_fmac_f32_e32 v19, 0xbf7e222b, v28
	v_add_f32_e32 v21, v15, v21
	v_fma_f32 v24, 0xbf788fa5, v33, -v57
	v_fma_f32 v26, 0x3df6dbef, v34, -v51
	v_add_f32_e32 v65, v82, v65
	v_add_f32_e32 v13, v14, v13
	v_fma_f32 v14, 0x3f116cb1, v32, -v64
	v_fma_f32 v64, 0x3df6dbef, v22, -v80
	v_mul_f32_e32 v82, 0x3f7e222b, v62
	v_add_f32_e32 v66, v3, v66
	v_fmac_f32_e32 v68, 0x3f7e222b, v46
	v_add_f32_e32 v19, v19, v20
	v_fmac_f32_e32 v18, 0x3e750f2a, v59
	;; [unrolled: 2-line block ×3, first 2 shown]
	v_add_f32_e32 v21, v4, v26
	v_fma_f32 v24, 0xbf788fa5, v31, -v48
	v_add_f32_e32 v13, v14, v13
	v_fma_f32 v69, 0xbf788fa5, v30, -v69
	v_add_f32_e32 v14, v64, v78
	v_fmamk_f32 v64, v23, 0x3df6dbef, v82
	v_add_f32_e32 v66, v66, v68
	v_fmac_f32_e32 v71, 0xbf52af12, v47
	v_add_f32_e32 v19, v18, v19
	v_fma_f32 v18, 0x3f116cb1, v22, -v63
	v_add_f32_e32 v26, v3, v54
	v_fmac_f32_e32 v55, 0xbe750f2a, v46
	v_add_f32_e32 v21, v21, v24
	v_fma_f32 v24, 0xbeb58ec6, v32, -v49
	v_add_f32_e32 v68, v69, v13
	v_add_f32_e32 v13, v64, v65
	v_add_f32_e32 v64, v71, v66
	v_fmac_f32_e32 v73, 0x3e750f2a, v28
	v_fmac_f32_e32 v17, 0x3f52af12, v62
	v_add_f32_e32 v18, v18, v20
	v_add_f32_e32 v20, v26, v55
	v_fmac_f32_e32 v53, 0x3f6f5d39, v47
	v_add_f32_e32 v21, v24, v21
	v_fma_f32 v24, 0x3f62ad3f, v30, -v52
	v_mul_f32_e32 v48, 0xbf52af12, v43
	v_add_f32_e32 v64, v73, v64
	v_fmac_f32_e32 v70, 0x3eedf032, v59
	v_add_f32_e32 v17, v17, v19
	v_add_f32_e32 v19, v53, v20
	;; [unrolled: 1-line block ×3, first 2 shown]
	v_fma_f32 v21, 0x3f116cb1, v34, -v48
	v_mul_f32_e32 v24, 0xbf6f5d39, v42
	v_mul_f32_e32 v49, 0xbf52af12, v45
	v_add_f32_e32 v56, v70, v64
	v_fmac_f32_e32 v75, 0xbf6f5d39, v62
	v_fmac_f32_e32 v60, 0x3eedf032, v28
	v_fma_f32 v26, 0x3f116cb1, v33, -v50
	v_add_f32_e32 v21, v4, v21
	v_fma_f32 v50, 0xbeb58ec6, v31, -v24
	v_mul_f32_e32 v51, 0xbe750f2a, v41
	v_fmamk_f32 v52, v35, 0x3f116cb1, v49
	v_mul_f32_e32 v53, 0xbf6f5d39, v46
	v_add_f32_e32 v15, v75, v56
	v_add_f32_e32 v19, v60, v19
	v_fmac_f32_e32 v27, 0xbf52af12, v59
	v_add_f32_e32 v21, v21, v50
	v_fma_f32 v50, 0xbf788fa5, v32, -v51
	v_mul_f32_e32 v54, 0x3f29c268, v39
	v_add_f32_e32 v52, v3, v52
	v_fmamk_f32 v55, v36, 0xbeb58ec6, v53
	v_mul_f32_e32 v56, 0xbe750f2a, v47
	v_add_f32_e32 v19, v27, v19
	v_add_f32_e32 v21, v50, v21
	v_fma_f32 v27, 0xbf3f9e67, v30, -v54
	v_add_f32_e32 v50, v52, v55
	v_fmamk_f32 v52, v37, 0xbf788fa5, v56
	v_mul_f32_e32 v55, 0x3f29c268, v28
	v_mul_f32_e32 v57, 0x3f7e222b, v40
	v_add_f32_e32 v20, v26, v20
	v_fma_f32 v26, 0xbf3f9e67, v22, -v61
	v_add_f32_e32 v21, v27, v21
	v_add_f32_e32 v27, v52, v50
	v_fmamk_f32 v50, v38, 0xbf3f9e67, v55
	v_mul_f32_e32 v52, 0x3f7e222b, v59
	v_fma_f32 v60, 0x3df6dbef, v33, -v57
	v_mul_f32_e32 v61, 0x3eedf032, v44
	v_add_f32_e32 v20, v26, v20
	v_add_f32_e32 v26, v50, v27
	v_fmamk_f32 v27, v25, 0x3df6dbef, v52
	v_add_f32_e32 v21, v60, v21
	v_fma_f32 v50, 0x3f62ad3f, v22, -v61
	v_mul_f32_e32 v43, 0xbeedf032, v43
	v_mul_f32_e32 v45, 0xbeedf032, v45
	v_fma_f32 v69, 0x3f62ad3f, v33, -v74
	v_add_f32_e32 v26, v27, v26
	v_add_f32_e32 v27, v50, v21
	v_fma_f32 v21, 0x3f62ad3f, v34, -v43
	v_mul_f32_e32 v50, 0xbf52af12, v42
	v_fmamk_f32 v42, v35, 0x3f62ad3f, v45
	v_mul_f32_e32 v46, 0xbf52af12, v46
	v_add_f32_e32 v65, v69, v68
	v_fma_f32 v64, 0xbeb58ec6, v22, -v72
	v_add_f32_e32 v21, v4, v21
	v_fma_f32 v60, 0x3f116cb1, v31, -v50
	v_mul_f32_e32 v63, 0xbf7e222b, v41
	v_add_f32_e32 v41, v3, v42
	v_fmamk_f32 v42, v36, 0x3f116cb1, v46
	v_mul_f32_e32 v47, 0xbf7e222b, v47
	v_add_f32_e32 v16, v64, v65
	v_fmac_f32_e32 v58, 0xbf29c268, v62
	v_add_f32_e32 v21, v21, v60
	v_fma_f32 v60, 0x3df6dbef, v32, -v63
	v_mul_f32_e32 v64, 0xbf6f5d39, v39
	v_add_f32_e32 v39, v41, v42
	v_fmamk_f32 v41, v37, 0x3df6dbef, v47
	v_mul_f32_e32 v28, 0xbf6f5d39, v28
	v_add_f32_e32 v19, v58, v19
	v_mul_f32_e32 v58, 0x3eedf032, v62
	v_add_f32_e32 v21, v60, v21
	v_fma_f32 v42, 0xbeb58ec6, v30, -v64
	v_mul_f32_e32 v60, 0xbf29c268, v40
	v_add_f32_e32 v39, v41, v39
	v_fmamk_f32 v40, v38, 0xbeb58ec6, v28
	v_mul_f32_e32 v59, 0xbf29c268, v59
	v_fmamk_f32 v41, v23, 0x3f62ad3f, v58
	v_add_f32_e32 v21, v42, v21
	v_fma_f32 v42, 0xbf3f9e67, v33, -v60
	v_add_f32_e32 v39, v40, v39
	v_fmamk_f32 v40, v25, 0xbf3f9e67, v59
	v_mul_f32_e32 v44, 0xbe750f2a, v44
	v_add_f32_e32 v26, v41, v26
	v_add_f32_e32 v21, v42, v21
	v_mul_f32_e32 v62, 0xbe750f2a, v62
	v_add_f32_e32 v39, v40, v39
	v_fma_f32 v40, 0xbf788fa5, v22, -v44
	v_fma_f32 v41, 0xbf788fa5, v35, -v77
	;; [unrolled: 1-line block ×3, first 2 shown]
	v_fmac_f32_e32 v48, 0x3f116cb1, v34
	v_fmac_f32_e32 v24, 0xbeb58ec6, v31
	v_add_f32_e32 v40, v40, v21
	v_fmamk_f32 v21, v23, 0xbf788fa5, v62
	v_add_f32_e32 v41, v3, v41
	v_add_f32_e32 v48, v4, v48
	v_fmac_f32_e32 v51, 0xbf788fa5, v32
	v_fmac_f32_e32 v54, 0xbf3f9e67, v30
	v_add_f32_e32 v39, v21, v39
	v_add_f32_e32 v21, v41, v65
	v_fma_f32 v41, 0xbf3f9e67, v37, -v83
	v_add_f32_e32 v24, v48, v24
	v_fma_f32 v48, 0x3df6dbef, v23, -v82
	v_fmac_f32_e32 v57, 0x3df6dbef, v33
	v_fmac_f32_e32 v76, 0xbf788fa5, v34
	v_add_f32_e32 v21, v41, v21
	v_fma_f32 v41, 0x3f116cb1, v38, -v85
	v_add_f32_e32 v24, v51, v24
	v_fmac_f32_e32 v43, 0x3f62ad3f, v34
	v_add_f32_e32 v42, v4, v76
	v_fmac_f32_e32 v79, 0x3f62ad3f, v31
	v_add_f32_e32 v21, v41, v21
	v_fma_f32 v41, 0xbeb58ec6, v25, -v87
	v_add_f32_e32 v24, v54, v24
	v_fma_f32 v51, 0xbeb58ec6, v36, -v53
	v_add_f32_e32 v4, v4, v43
	v_fmac_f32_e32 v50, 0x3f116cb1, v31
	v_add_f32_e32 v21, v41, v21
	v_fma_f32 v41, 0x3f116cb1, v35, -v49
	v_add_f32_e32 v42, v42, v79
	v_fmac_f32_e32 v81, 0xbf3f9e67, v32
	v_add_f32_e32 v4, v4, v50
	v_fmac_f32_e32 v63, 0x3df6dbef, v32
	v_add_f32_e32 v49, v3, v41
	v_add_f32_e32 v41, v48, v21
	;; [unrolled: 1-line block ×3, first 2 shown]
	v_fma_f32 v24, 0x3f62ad3f, v35, -v45
	v_fma_f32 v35, 0xbf788fa5, v37, -v56
	v_add_f32_e32 v34, v49, v51
	v_add_f32_e32 v42, v81, v42
	v_fmac_f32_e32 v84, 0x3f116cb1, v30
	v_add_f32_e32 v3, v3, v24
	v_fma_f32 v24, 0x3f116cb1, v36, -v46
	v_add_f32_e32 v31, v35, v34
	v_fma_f32 v34, 0xbf3f9e67, v38, -v55
	v_add_f32_e32 v4, v63, v4
	v_fmac_f32_e32 v64, 0xbeb58ec6, v30
	v_add_f32_e32 v3, v3, v24
	v_fma_f32 v24, 0x3df6dbef, v37, -v47
	v_add_f32_e32 v42, v84, v42
	v_fmac_f32_e32 v86, 0xbeb58ec6, v33
	v_add_f32_e32 v31, v34, v31
	v_fma_f32 v32, 0x3df6dbef, v25, -v52
	v_add_f32_e32 v3, v24, v3
	v_fma_f32 v24, 0xbeb58ec6, v38, -v28
	v_add_f32_e32 v4, v64, v4
	v_fmac_f32_e32 v60, 0xbf3f9e67, v33
	v_mul_u32_u24_e32 v30, 0x68, v2
	v_add_f32_e32 v42, v86, v42
	v_add_f32_e32 v3, v24, v3
	v_fma_f32 v24, 0xbf3f9e67, v25, -v59
	v_fmac_f32_e32 v80, 0x3df6dbef, v22
	v_fmac_f32_e32 v61, 0x3f62ad3f, v22
	v_add_f32_e32 v28, v32, v31
	v_fma_f32 v25, 0x3f62ad3f, v23, -v58
	v_add_f32_e32 v31, v60, v4
	v_fmac_f32_e32 v44, 0xbf788fa5, v22
	v_add_f32_e32 v24, v24, v3
	v_fma_f32 v23, 0xbf788fa5, v23, -v62
	v_add3_u32 v30, 0, v30, v29
	v_add_f32_e32 v42, v80, v42
	v_add_f32_e32 v4, v61, v21
	v_add_f32_e32 v3, v25, v28
	v_add_f32_e32 v22, v44, v31
	v_add_f32_e32 v21, v23, v24
	ds_write2_b64 v30, v[7:8], v[39:40] offset1:1
	ds_write2_b64 v30, v[26:27], v[19:20] offset0:2 offset1:3
	ds_write2_b64 v30, v[17:18], v[15:16] offset0:4 offset1:5
	;; [unrolled: 1-line block ×5, first 2 shown]
	ds_write_b64 v30, v[21:22] offset:96
.LBB0_13:
	s_or_b32 exec_lo, exec_lo, s1
	s_waitcnt vmcnt(12)
	v_add_nc_u32_e32 v3, -13, v2
	v_add_nc_u32_e32 v38, 26, v2
	v_cmp_gt_u32_e64 s0, 13, v2
	s_waitcnt vmcnt(2)
	v_add_nc_u16 v11, v2, 52
	v_mov_b32_e32 v4, 0
	v_mov_b32_e32 v54, 3
	v_and_b32_e32 v5, 0xff, v38
	v_cndmask_b32_e64 v39, v3, v2, s0
	s_waitcnt vmcnt(0)
	v_and_b32_e32 v7, 0xff, v11
	s_waitcnt lgkmcnt(0)
	s_barrier
	v_mul_lo_u16 v8, 0x4f, v5
	v_mul_i32_i24_e32 v3, 3, v39
	buffer_gl0_inv
	v_lshlrev_b32_e32 v53, 3, v39
	v_lshrrev_b16 v40, 10, v8
	v_lshlrev_b64 v[5:6], 3, v[3:4]
	v_mul_lo_u16 v3, 0x4f, v7
	v_mul_lo_u16 v12, v40, 13
	v_and_b32_e32 v58, 0xffff, v40
	v_lshrrev_b16 v41, 10, v3
	v_add_co_u32 v5, s0, s8, v5
	v_add_co_ci_u32_e64 v6, s0, s9, v6, s0
	v_sub_nc_u16 v55, v38, v12
	v_mul_lo_u16 v3, v41, 13
	v_cmp_lt_u32_e64 s0, 12, v2
	s_clause 0x1
	global_load_dwordx4 v[7:10], v[5:6], off
	global_load_dwordx2 v[27:28], v[5:6], off offset:16
	v_mul_u32_u24_sdwa v5, v55, v54 dst_sel:DWORD dst_unused:UNUSED_PAD src0_sel:BYTE_0 src1_sel:DWORD
	v_sub_nc_u16 v56, v11, v3
	v_cndmask_b32_e64 v19, 0, 0x1a0, s0
	v_and_b32_e32 v59, 0xffff, v41
	v_mad_u32_u24 v58, 0x1a0, v58, 0
	v_lshlrev_b32_e32 v3, 3, v5
	v_mul_u32_u24_sdwa v5, v56, v54 dst_sel:DWORD dst_unused:UNUSED_PAD src0_sel:BYTE_0 src1_sel:DWORD
	v_add_nc_u32_e32 v52, 0, v19
	v_mad_u32_u24 v59, 0x1a0, v59, 0
	global_load_dwordx4 v[11:14], v3, s[8:9]
	v_lshlrev_b32_e32 v5, 3, v5
	s_clause 0x2
	global_load_dwordx2 v[42:43], v3, s[8:9] offset:16
	global_load_dwordx4 v[15:18], v5, s[8:9]
	global_load_dwordx2 v[44:45], v5, s[8:9] offset:16
	v_lshlrev_b32_e32 v3, 3, v2
	v_add3_u32 v60, v52, v53, v29
	v_add3_u32 v6, 0, v3, v29
	;; [unrolled: 1-line block ×3, first 2 shown]
	v_lshlrev_b32_e32 v3, 1, v2
	ds_read2_b64 v[19:22], v6 offset0:78 offset1:104
	ds_read2_b64 v[23:26], v6 offset0:130 offset1:156
	v_add_nc_u32_e32 v57, 0x400, v6
	ds_read2_b64 v[30:33], v6 offset0:26 offset1:52
	ds_read2_b64 v[34:37], v6 offset0:182 offset1:208
	ds_read_b64 v[46:47], v5
	ds_read_b64 v[48:49], v6 offset:2288
	v_lshlrev_b64 v[50:51], 3, v[3:4]
	v_lshlrev_b32_e32 v3, 1, v38
	ds_read2_b64 v[38:41], v57 offset0:106 offset1:132
	s_waitcnt vmcnt(0) lgkmcnt(0)
	s_barrier
	buffer_gl0_inv
	v_lshlrev_b64 v[52:53], 3, v[3:4]
	v_lshlrev_b32_sdwa v3, v54, v55 dst_sel:DWORD dst_unused:UNUSED_PAD src0_sel:DWORD src1_sel:BYTE_0
	v_lshlrev_b32_sdwa v54, v54, v56 dst_sel:DWORD dst_unused:UNUSED_PAD src0_sel:DWORD src1_sel:BYTE_0
	v_add_co_u32 v50, s0, s8, v50
	v_add_co_ci_u32_e64 v51, s0, s9, v51, s0
	v_add3_u32 v3, v58, v3, v29
	v_add3_u32 v54, v59, v54, v29
	v_add_co_u32 v52, s0, s8, v52
	v_add_co_ci_u32_e64 v53, s0, s9, v53, s0
	v_mul_f32_e32 v29, v8, v20
	v_mul_f32_e32 v8, v8, v19
	v_mul_f32_e32 v55, v10, v26
	v_mul_f32_e32 v10, v10, v25
	v_mul_f32_e32 v56, v28, v39
	v_mul_f32_e32 v28, v28, v38
	v_fmac_f32_e32 v29, v7, v19
	v_fma_f32 v7, v7, v20, -v8
	v_fmac_f32_e32 v55, v9, v25
	v_fma_f32 v8, v9, v26, -v10
	;; [unrolled: 2-line block ×3, first 2 shown]
	v_mul_f32_e32 v25, v12, v22
	v_mul_f32_e32 v10, v12, v21
	;; [unrolled: 1-line block ×6, first 2 shown]
	v_sub_f32_e32 v19, v46, v55
	v_sub_f32_e32 v20, v47, v8
	;; [unrolled: 1-line block ×4, first 2 shown]
	v_mul_f32_e32 v28, v24, v16
	v_mul_f32_e32 v16, v23, v16
	;; [unrolled: 1-line block ×6, first 2 shown]
	v_fmac_f32_e32 v25, v11, v21
	v_fma_f32 v21, v11, v22, -v10
	v_fmac_f32_e32 v26, v34, v13
	v_fma_f32 v13, v35, v13, -v12
	;; [unrolled: 2-line block ×3, first 2 shown]
	v_fma_f32 v45, v46, 2.0, -v19
	v_fma_f32 v46, v47, 2.0, -v20
	;; [unrolled: 1-line block ×4, first 2 shown]
	v_add_f32_e32 v7, v19, v9
	v_sub_f32_e32 v8, v20, v8
	v_fmac_f32_e32 v28, v23, v15
	v_fma_f32 v23, v24, v15, -v16
	v_fmac_f32_e32 v38, v36, v17
	v_fma_f32 v15, v37, v17, -v18
	;; [unrolled: 2-line block ×3, first 2 shown]
	v_sub_f32_e32 v24, v30, v26
	v_sub_f32_e32 v26, v31, v13
	;; [unrolled: 1-line block ×5, first 2 shown]
	v_fma_f32 v11, v19, 2.0, -v7
	v_fma_f32 v12, v20, 2.0, -v8
	v_sub_f32_e32 v27, v32, v38
	v_sub_f32_e32 v29, v33, v15
	;; [unrolled: 1-line block ×4, first 2 shown]
	v_fma_f32 v30, v30, 2.0, -v24
	v_fma_f32 v31, v31, 2.0, -v26
	;; [unrolled: 1-line block ×4, first 2 shown]
	v_add_f32_e32 v15, v24, v18
	v_fma_f32 v32, v32, 2.0, -v27
	v_fma_f32 v33, v33, 2.0, -v29
	;; [unrolled: 1-line block ×4, first 2 shown]
	v_sub_f32_e32 v10, v46, v47
	v_sub_f32_e32 v16, v26, v17
	v_add_f32_e32 v17, v27, v20
	v_sub_f32_e32 v18, v29, v19
	v_sub_f32_e32 v19, v30, v22
	;; [unrolled: 1-line block ×3, first 2 shown]
	v_fma_f32 v21, v24, 2.0, -v15
	v_sub_f32_e32 v23, v32, v25
	v_sub_f32_e32 v24, v33, v28
	v_fma_f32 v13, v45, 2.0, -v9
	v_fma_f32 v14, v46, 2.0, -v10
	;; [unrolled: 1-line block ×9, first 2 shown]
	ds_write2_b64 v60, v[9:10], v[7:8] offset0:26 offset1:39
	ds_write2_b64 v60, v[13:14], v[11:12] offset1:13
	ds_write2_b64 v3, v[19:20], v[15:16] offset0:26 offset1:39
	ds_write2_b64 v3, v[27:28], v[21:22] offset1:13
	ds_write2_b64 v54, v[29:30], v[25:26] offset1:13
	ds_write2_b64 v54, v[23:24], v[17:18] offset0:26 offset1:39
	s_waitcnt lgkmcnt(0)
	s_barrier
	buffer_gl0_inv
	s_clause 0x1
	global_load_dwordx4 v[8:11], v[50:51], off offset:312
	global_load_dwordx4 v[12:15], v[52:53], off offset:312
	ds_read2_b64 v[16:19], v6 offset0:78 offset1:104
	ds_read2_b64 v[20:23], v6 offset0:182 offset1:208
	;; [unrolled: 1-line block ×4, first 2 shown]
	ds_read_b64 v[36:37], v5
	ds_read_b64 v[38:39], v6 offset:2288
	ds_read2_b64 v[32:35], v6 offset0:26 offset1:52
	v_add_nc_u32_e32 v7, 0x800, v6
	s_waitcnt vmcnt(0) lgkmcnt(0)
	s_barrier
	buffer_gl0_inv
	v_mul_f32_e32 v3, v9, v19
	v_mul_f32_e32 v40, v9, v18
	;; [unrolled: 1-line block ×16, first 2 shown]
	v_fmac_f32_e32 v3, v8, v18
	v_fma_f32 v18, v8, v19, -v40
	v_fmac_f32_e32 v41, v10, v22
	v_fma_f32 v19, v10, v23, -v42
	;; [unrolled: 2-line block ×8, first 2 shown]
	v_add_f32_e32 v11, v3, v41
	v_sub_f32_e32 v21, v18, v19
	v_add_f32_e32 v12, v37, v18
	v_add_f32_e32 v13, v18, v19
	;; [unrolled: 1-line block ×3, first 2 shown]
	v_sub_f32_e32 v25, v22, v23
	v_add_f32_e32 v18, v33, v22
	v_add_f32_e32 v22, v22, v23
	;; [unrolled: 1-line block ×8, first 2 shown]
	v_sub_f32_e32 v26, v43, v45
	v_add_f32_e32 v27, v34, v47
	v_add_f32_e32 v30, v35, v8
	;; [unrolled: 1-line block ×4, first 2 shown]
	v_sub_f32_e32 v3, v3, v41
	v_sub_f32_e32 v42, v9, v20
	v_fma_f32 v36, -0.5, v11, v36
	v_add_f32_e32 v9, v12, v19
	v_fmac_f32_e32 v37, -0.5, v13
	v_fma_f32 v12, -0.5, v15, v32
	v_fma_f32 v13, -0.5, v22, v33
	v_sub_f32_e32 v29, v8, v24
	v_sub_f32_e32 v38, v47, v48
	;; [unrolled: 1-line block ×3, first 2 shown]
	v_fma_f32 v34, -0.5, v28, v34
	v_fmac_f32_e32 v35, -0.5, v31
	v_fma_f32 v16, -0.5, v40, v16
	v_fmac_f32_e32 v17, -0.5, v44
	v_add_f32_e32 v8, v10, v41
	v_add_f32_e32 v10, v14, v45
	;; [unrolled: 1-line block ×7, first 2 shown]
	v_fmamk_f32 v20, v21, 0xbf5db3d7, v36
	v_fmac_f32_e32 v36, 0x3f5db3d7, v21
	v_fmamk_f32 v21, v3, 0x3f5db3d7, v37
	v_fmamk_f32 v22, v25, 0xbf5db3d7, v12
	;; [unrolled: 1-line block ×3, first 2 shown]
	v_fmac_f32_e32 v37, 0xbf5db3d7, v3
	v_fmac_f32_e32 v12, 0x3f5db3d7, v25
	;; [unrolled: 1-line block ×3, first 2 shown]
	v_fmamk_f32 v24, v29, 0xbf5db3d7, v34
	v_fmamk_f32 v25, v38, 0x3f5db3d7, v35
	;; [unrolled: 1-line block ×4, first 2 shown]
	v_fmac_f32_e32 v34, 0x3f5db3d7, v29
	v_fmac_f32_e32 v35, 0xbf5db3d7, v38
	;; [unrolled: 1-line block ×4, first 2 shown]
	ds_write2_b64 v6, v[8:9], v[10:11] offset1:26
	ds_write2_b64 v6, v[14:15], v[18:19] offset0:156 offset1:182
	ds_write2_b64 v6, v[20:21], v[22:23] offset0:52 offset1:78
	;; [unrolled: 1-line block ×5, first 2 shown]
	s_waitcnt lgkmcnt(0)
	s_barrier
	buffer_gl0_inv
	s_and_saveexec_b32 s0, vcc_lo
	s_cbranch_execz .LBB0_15
; %bb.14:
	v_mov_b32_e32 v3, v4
	v_lshlrev_b64 v[19:20], 3, v[2:3]
	v_add_nc_u32_e32 v3, 0x68, v2
	v_add_nc_u32_e32 v2, 0x82, v2
	v_lshrrev_b32_e32 v3, 2, v3
	v_add_co_u32 v8, vcc_lo, s8, v19
	v_add_co_ci_u32_e32 v9, vcc_lo, s9, v20, vcc_lo
	v_mul_hi_u32 v3, 0x34834835, v3
	v_add_co_u32 v10, vcc_lo, 0x800, v8
	v_add_co_ci_u32_e32 v11, vcc_lo, 0, v9, vcc_lo
	s_clause 0x5
	global_load_dwordx2 v[21:22], v[8:9], off offset:1768
	global_load_dwordx2 v[23:24], v[8:9], off offset:1560
	;; [unrolled: 1-line block ×6, first 2 shown]
	v_lshrrev_b32_e32 v2, 2, v2
	v_lshrrev_b32_e32 v3, 3, v3
	ds_read2_b64 v[7:10], v7 offset0:4 offset1:30
	ds_read_b32 v47, v6 offset:1044
	ds_read_b64 v[33:34], v6 offset:1040
	ds_read_b32 v48, v6 offset:836
	ds_read_b64 v[35:36], v6 offset:832
	ds_read2_b64 v[11:14], v6 offset0:208 offset1:234
	ds_read_b32 v49, v6 offset:628
	ds_read_b64 v[37:38], v6 offset:624
	ds_read_b32 v50, v6 offset:420
	ds_read_b64 v[39:40], v6 offset:416
	v_mul_hi_u32 v2, 0x34834835, v2
	ds_read_b32 v51, v6 offset:212
	ds_read2_b64 v[15:18], v6 offset0:156 offset1:182
	ds_read_b64 v[41:42], v5
	v_mul_lo_u32 v3, 0x9c, v3
	v_lshrrev_b32_e32 v2, 3, v2
	v_lshlrev_b64 v[43:44], 3, v[3:4]
	v_mul_lo_u32 v3, 0x9c, v2
	v_add_co_u32 v2, vcc_lo, s2, v0
	v_add_co_ci_u32_e32 v45, vcc_lo, s3, v1, vcc_lo
	ds_read_b64 v[0:1], v6 offset:208
	ds_read_b32 v52, v5 offset:4
	v_add_co_u32 v5, vcc_lo, v2, v19
	v_lshlrev_b64 v[2:3], 3, v[3:4]
	v_add_co_ci_u32_e32 v6, vcc_lo, v45, v20, vcc_lo
	v_add_co_u32 v19, vcc_lo, v5, v43
	v_add_co_ci_u32_e32 v20, vcc_lo, v6, v44, vcc_lo
	v_add_co_u32 v2, vcc_lo, v5, v2
	;; [unrolled: 2-line block ×4, first 2 shown]
	v_add_co_ci_u32_e32 v46, vcc_lo, 0, v3, vcc_lo
	s_waitcnt vmcnt(3) lgkmcnt(3)
	v_mul_f32_e32 v54, v26, v17
	v_mul_f32_e32 v4, v22, v13
	;; [unrolled: 1-line block ×3, first 2 shown]
	s_waitcnt vmcnt(2)
	v_mul_f32_e32 v55, v28, v15
	v_mul_f32_e32 v28, v28, v16
	;; [unrolled: 1-line block ×5, first 2 shown]
	s_waitcnt vmcnt(1)
	v_mul_f32_e32 v56, v30, v9
	v_mul_f32_e32 v57, v29, v9
	s_waitcnt vmcnt(0)
	v_mul_f32_e32 v9, v32, v7
	v_mul_f32_e32 v32, v32, v8
	v_fmac_f32_e32 v22, v21, v13
	v_fma_f32 v13, v27, v16, -v55
	v_fmac_f32_e32 v28, v27, v15
	v_fma_f32 v12, v23, v12, -v53
	v_fmac_f32_e32 v24, v23, v11
	v_fma_f32 v11, v25, v18, -v54
	v_fmac_f32_e32 v26, v25, v17
	v_fma_f32 v4, v21, v14, -v4
	v_fma_f32 v15, v29, v10, -v56
	v_fmac_f32_e32 v57, v10, v30
	v_fma_f32 v17, v31, v8, -v9
	v_fmac_f32_e32 v32, v31, v7
	s_waitcnt lgkmcnt(2)
	v_sub_f32_e32 v14, v42, v13
	v_sub_f32_e32 v13, v41, v28
	;; [unrolled: 1-line block ×3, first 2 shown]
	s_waitcnt lgkmcnt(1)
	v_sub_f32_e32 v12, v1, v11
	v_sub_f32_e32 v11, v0, v26
	;; [unrolled: 1-line block ×9, first 2 shown]
	s_waitcnt lgkmcnt(0)
	v_fma_f32 v26, v52, 2.0, -v14
	v_fma_f32 v25, v41, 2.0, -v13
	v_fma_f32 v1, v51, 2.0, -v12
	v_fma_f32 v0, v0, 2.0, -v11
	v_fma_f32 v24, v50, 2.0, -v10
	v_fma_f32 v23, v39, 2.0, -v9
	v_fma_f32 v22, v49, 2.0, -v8
	v_fma_f32 v21, v37, 2.0, -v7
	global_store_dwordx2 v[5:6], v[13:14], off offset:1248
	global_store_dwordx2 v[5:6], v[11:12], off offset:1456
	global_store_dwordx2 v[5:6], v[9:10], off offset:1664
	global_store_dwordx2 v[5:6], v[7:8], off offset:1872
	v_fma_f32 v8, v47, 2.0, -v16
	v_fma_f32 v7, v33, 2.0, -v15
	;; [unrolled: 1-line block ×4, first 2 shown]
	global_store_dwordx2 v[5:6], v[25:26], off
	global_store_dwordx2 v[5:6], v[0:1], off offset:208
	global_store_dwordx2 v[5:6], v[23:24], off offset:416
	;; [unrolled: 1-line block ×7, first 2 shown]
.LBB0_15:
	s_endpgm
	.section	.rodata,"a",@progbits
	.p2align	6, 0x0
	.amdhsa_kernel fft_rtc_back_len312_factors_13_4_3_2_wgs_52_tpt_26_sp_ip_CI_unitstride_sbrr_dirReg
		.amdhsa_group_segment_fixed_size 0
		.amdhsa_private_segment_fixed_size 0
		.amdhsa_kernarg_size 88
		.amdhsa_user_sgpr_count 6
		.amdhsa_user_sgpr_private_segment_buffer 1
		.amdhsa_user_sgpr_dispatch_ptr 0
		.amdhsa_user_sgpr_queue_ptr 0
		.amdhsa_user_sgpr_kernarg_segment_ptr 1
		.amdhsa_user_sgpr_dispatch_id 0
		.amdhsa_user_sgpr_flat_scratch_init 0
		.amdhsa_user_sgpr_private_segment_size 0
		.amdhsa_wavefront_size32 1
		.amdhsa_uses_dynamic_stack 0
		.amdhsa_system_sgpr_private_segment_wavefront_offset 0
		.amdhsa_system_sgpr_workgroup_id_x 1
		.amdhsa_system_sgpr_workgroup_id_y 0
		.amdhsa_system_sgpr_workgroup_id_z 0
		.amdhsa_system_sgpr_workgroup_info 0
		.amdhsa_system_vgpr_workitem_id 0
		.amdhsa_next_free_vgpr 88
		.amdhsa_next_free_sgpr 21
		.amdhsa_reserve_vcc 1
		.amdhsa_reserve_flat_scratch 0
		.amdhsa_float_round_mode_32 0
		.amdhsa_float_round_mode_16_64 0
		.amdhsa_float_denorm_mode_32 3
		.amdhsa_float_denorm_mode_16_64 3
		.amdhsa_dx10_clamp 1
		.amdhsa_ieee_mode 1
		.amdhsa_fp16_overflow 0
		.amdhsa_workgroup_processor_mode 1
		.amdhsa_memory_ordered 1
		.amdhsa_forward_progress 0
		.amdhsa_shared_vgpr_count 0
		.amdhsa_exception_fp_ieee_invalid_op 0
		.amdhsa_exception_fp_denorm_src 0
		.amdhsa_exception_fp_ieee_div_zero 0
		.amdhsa_exception_fp_ieee_overflow 0
		.amdhsa_exception_fp_ieee_underflow 0
		.amdhsa_exception_fp_ieee_inexact 0
		.amdhsa_exception_int_div_zero 0
	.end_amdhsa_kernel
	.text
.Lfunc_end0:
	.size	fft_rtc_back_len312_factors_13_4_3_2_wgs_52_tpt_26_sp_ip_CI_unitstride_sbrr_dirReg, .Lfunc_end0-fft_rtc_back_len312_factors_13_4_3_2_wgs_52_tpt_26_sp_ip_CI_unitstride_sbrr_dirReg
                                        ; -- End function
	.section	.AMDGPU.csdata,"",@progbits
; Kernel info:
; codeLenInByte = 6692
; NumSgprs: 23
; NumVgprs: 88
; ScratchSize: 0
; MemoryBound: 0
; FloatMode: 240
; IeeeMode: 1
; LDSByteSize: 0 bytes/workgroup (compile time only)
; SGPRBlocks: 2
; VGPRBlocks: 10
; NumSGPRsForWavesPerEU: 23
; NumVGPRsForWavesPerEU: 88
; Occupancy: 10
; WaveLimiterHint : 1
; COMPUTE_PGM_RSRC2:SCRATCH_EN: 0
; COMPUTE_PGM_RSRC2:USER_SGPR: 6
; COMPUTE_PGM_RSRC2:TRAP_HANDLER: 0
; COMPUTE_PGM_RSRC2:TGID_X_EN: 1
; COMPUTE_PGM_RSRC2:TGID_Y_EN: 0
; COMPUTE_PGM_RSRC2:TGID_Z_EN: 0
; COMPUTE_PGM_RSRC2:TIDIG_COMP_CNT: 0
	.text
	.p2alignl 6, 3214868480
	.fill 48, 4, 3214868480
	.type	__hip_cuid_be6fd14c48f83e96,@object ; @__hip_cuid_be6fd14c48f83e96
	.section	.bss,"aw",@nobits
	.globl	__hip_cuid_be6fd14c48f83e96
__hip_cuid_be6fd14c48f83e96:
	.byte	0                               ; 0x0
	.size	__hip_cuid_be6fd14c48f83e96, 1

	.ident	"AMD clang version 19.0.0git (https://github.com/RadeonOpenCompute/llvm-project roc-6.4.0 25133 c7fe45cf4b819c5991fe208aaa96edf142730f1d)"
	.section	".note.GNU-stack","",@progbits
	.addrsig
	.addrsig_sym __hip_cuid_be6fd14c48f83e96
	.amdgpu_metadata
---
amdhsa.kernels:
  - .args:
      - .actual_access:  read_only
        .address_space:  global
        .offset:         0
        .size:           8
        .value_kind:     global_buffer
      - .offset:         8
        .size:           8
        .value_kind:     by_value
      - .actual_access:  read_only
        .address_space:  global
        .offset:         16
        .size:           8
        .value_kind:     global_buffer
      - .actual_access:  read_only
        .address_space:  global
        .offset:         24
        .size:           8
        .value_kind:     global_buffer
      - .offset:         32
        .size:           8
        .value_kind:     by_value
      - .actual_access:  read_only
        .address_space:  global
        .offset:         40
        .size:           8
        .value_kind:     global_buffer
      - .actual_access:  read_only
        .address_space:  global
        .offset:         48
        .size:           8
        .value_kind:     global_buffer
      - .offset:         56
        .size:           4
        .value_kind:     by_value
      - .actual_access:  read_only
        .address_space:  global
        .offset:         64
        .size:           8
        .value_kind:     global_buffer
      - .actual_access:  read_only
        .address_space:  global
        .offset:         72
        .size:           8
        .value_kind:     global_buffer
      - .address_space:  global
        .offset:         80
        .size:           8
        .value_kind:     global_buffer
    .group_segment_fixed_size: 0
    .kernarg_segment_align: 8
    .kernarg_segment_size: 88
    .language:       OpenCL C
    .language_version:
      - 2
      - 0
    .max_flat_workgroup_size: 52
    .name:           fft_rtc_back_len312_factors_13_4_3_2_wgs_52_tpt_26_sp_ip_CI_unitstride_sbrr_dirReg
    .private_segment_fixed_size: 0
    .sgpr_count:     23
    .sgpr_spill_count: 0
    .symbol:         fft_rtc_back_len312_factors_13_4_3_2_wgs_52_tpt_26_sp_ip_CI_unitstride_sbrr_dirReg.kd
    .uniform_work_group_size: 1
    .uses_dynamic_stack: false
    .vgpr_count:     88
    .vgpr_spill_count: 0
    .wavefront_size: 32
    .workgroup_processor_mode: 1
amdhsa.target:   amdgcn-amd-amdhsa--gfx1030
amdhsa.version:
  - 1
  - 2
...

	.end_amdgpu_metadata
